;; amdgpu-corpus repo=ROCm/rocFFT kind=compiled arch=gfx906 opt=O3
	.text
	.amdgcn_target "amdgcn-amd-amdhsa--gfx906"
	.amdhsa_code_object_version 6
	.protected	fft_rtc_back_len780_factors_2_3_13_5_2_wgs_234_tpt_78_halfLds_dp_op_CI_CI_unitstride_sbrr_C2R_dirReg ; -- Begin function fft_rtc_back_len780_factors_2_3_13_5_2_wgs_234_tpt_78_halfLds_dp_op_CI_CI_unitstride_sbrr_C2R_dirReg
	.globl	fft_rtc_back_len780_factors_2_3_13_5_2_wgs_234_tpt_78_halfLds_dp_op_CI_CI_unitstride_sbrr_C2R_dirReg
	.p2align	8
	.type	fft_rtc_back_len780_factors_2_3_13_5_2_wgs_234_tpt_78_halfLds_dp_op_CI_CI_unitstride_sbrr_C2R_dirReg,@function
fft_rtc_back_len780_factors_2_3_13_5_2_wgs_234_tpt_78_halfLds_dp_op_CI_CI_unitstride_sbrr_C2R_dirReg: ; @fft_rtc_back_len780_factors_2_3_13_5_2_wgs_234_tpt_78_halfLds_dp_op_CI_CI_unitstride_sbrr_C2R_dirReg
; %bb.0:
	s_load_dwordx4 s[8:11], s[4:5], 0x58
	s_load_dwordx4 s[12:15], s[4:5], 0x0
	;; [unrolled: 1-line block ×3, first 2 shown]
	v_mul_u32_u24_e32 v1, 0x349, v0
	v_lshrrev_b32_e32 v1, 16, v1
	v_mad_u64_u32 v[3:4], s[0:1], s6, 3, v[1:2]
	v_mov_b32_e32 v5, 0
	v_mov_b32_e32 v1, 0
	;; [unrolled: 1-line block ×3, first 2 shown]
	s_waitcnt lgkmcnt(0)
	v_cmp_lt_u64_e64 s[0:1], s[14:15], 2
	v_mov_b32_e32 v2, 0
	v_mov_b32_e32 v53, v2
	;; [unrolled: 1-line block ×3, first 2 shown]
	s_and_b64 vcc, exec, s[0:1]
	v_mov_b32_e32 v52, v1
	v_mov_b32_e32 v54, v3
	s_cbranch_vccnz .LBB0_8
; %bb.1:
	s_load_dwordx2 s[0:1], s[4:5], 0x10
	s_add_u32 s2, s18, 8
	s_addc_u32 s3, s19, 0
	s_add_u32 s6, s16, 8
	v_mov_b32_e32 v1, 0
	s_addc_u32 s7, s17, 0
	v_mov_b32_e32 v2, 0
	s_waitcnt lgkmcnt(0)
	s_add_u32 s20, s0, 8
	v_mov_b32_e32 v53, v2
	v_mov_b32_e32 v8, v4
	s_addc_u32 s21, s1, 0
	s_mov_b64 s[22:23], 1
	v_mov_b32_e32 v52, v1
	v_mov_b32_e32 v7, v3
.LBB0_2:                                ; =>This Inner Loop Header: Depth=1
	s_load_dwordx2 s[24:25], s[20:21], 0x0
                                        ; implicit-def: $vgpr54_vgpr55
	s_waitcnt lgkmcnt(0)
	v_or_b32_e32 v6, s25, v8
	v_cmp_ne_u64_e32 vcc, 0, v[5:6]
	s_and_saveexec_b64 s[0:1], vcc
	s_xor_b64 s[26:27], exec, s[0:1]
	s_cbranch_execz .LBB0_4
; %bb.3:                                ;   in Loop: Header=BB0_2 Depth=1
	v_cvt_f32_u32_e32 v4, s24
	v_cvt_f32_u32_e32 v6, s25
	s_sub_u32 s0, 0, s24
	s_subb_u32 s1, 0, s25
	v_mac_f32_e32 v4, 0x4f800000, v6
	v_rcp_f32_e32 v4, v4
	v_mul_f32_e32 v4, 0x5f7ffffc, v4
	v_mul_f32_e32 v6, 0x2f800000, v4
	v_trunc_f32_e32 v6, v6
	v_mac_f32_e32 v4, 0xcf800000, v6
	v_cvt_u32_f32_e32 v6, v6
	v_cvt_u32_f32_e32 v4, v4
	v_mul_lo_u32 v9, s0, v6
	v_mul_hi_u32 v10, s0, v4
	v_mul_lo_u32 v12, s1, v4
	v_mul_lo_u32 v11, s0, v4
	v_add_u32_e32 v9, v10, v9
	v_add_u32_e32 v9, v9, v12
	v_mul_hi_u32 v10, v4, v11
	v_mul_lo_u32 v12, v4, v9
	v_mul_hi_u32 v14, v4, v9
	v_mul_hi_u32 v13, v6, v11
	v_mul_lo_u32 v11, v6, v11
	v_mul_hi_u32 v15, v6, v9
	v_add_co_u32_e32 v10, vcc, v10, v12
	v_addc_co_u32_e32 v12, vcc, 0, v14, vcc
	v_mul_lo_u32 v9, v6, v9
	v_add_co_u32_e32 v10, vcc, v10, v11
	v_addc_co_u32_e32 v10, vcc, v12, v13, vcc
	v_addc_co_u32_e32 v11, vcc, 0, v15, vcc
	v_add_co_u32_e32 v9, vcc, v10, v9
	v_addc_co_u32_e32 v10, vcc, 0, v11, vcc
	v_add_co_u32_e32 v4, vcc, v4, v9
	v_addc_co_u32_e32 v6, vcc, v6, v10, vcc
	v_mul_lo_u32 v9, s0, v6
	v_mul_hi_u32 v10, s0, v4
	v_mul_lo_u32 v11, s1, v4
	v_mul_lo_u32 v12, s0, v4
	v_add_u32_e32 v9, v10, v9
	v_add_u32_e32 v9, v9, v11
	v_mul_lo_u32 v13, v4, v9
	v_mul_hi_u32 v14, v4, v12
	v_mul_hi_u32 v15, v4, v9
	;; [unrolled: 1-line block ×3, first 2 shown]
	v_mul_lo_u32 v12, v6, v12
	v_mul_hi_u32 v10, v6, v9
	v_add_co_u32_e32 v13, vcc, v14, v13
	v_addc_co_u32_e32 v14, vcc, 0, v15, vcc
	v_mul_lo_u32 v9, v6, v9
	v_add_co_u32_e32 v12, vcc, v13, v12
	v_addc_co_u32_e32 v11, vcc, v14, v11, vcc
	v_addc_co_u32_e32 v10, vcc, 0, v10, vcc
	v_add_co_u32_e32 v9, vcc, v11, v9
	v_addc_co_u32_e32 v10, vcc, 0, v10, vcc
	v_add_co_u32_e32 v4, vcc, v4, v9
	v_addc_co_u32_e32 v6, vcc, v6, v10, vcc
	v_mad_u64_u32 v[9:10], s[0:1], v7, v6, 0
	v_mul_hi_u32 v11, v7, v4
	v_add_co_u32_e32 v13, vcc, v11, v9
	v_addc_co_u32_e32 v14, vcc, 0, v10, vcc
	v_mad_u64_u32 v[9:10], s[0:1], v8, v4, 0
	v_mad_u64_u32 v[11:12], s[0:1], v8, v6, 0
	v_add_co_u32_e32 v4, vcc, v13, v9
	v_addc_co_u32_e32 v4, vcc, v14, v10, vcc
	v_addc_co_u32_e32 v6, vcc, 0, v12, vcc
	v_add_co_u32_e32 v4, vcc, v4, v11
	v_addc_co_u32_e32 v6, vcc, 0, v6, vcc
	v_mul_lo_u32 v11, s25, v4
	v_mul_lo_u32 v12, s24, v6
	v_mad_u64_u32 v[9:10], s[0:1], s24, v4, 0
	v_add3_u32 v10, v10, v12, v11
	v_sub_u32_e32 v11, v8, v10
	v_mov_b32_e32 v12, s25
	v_sub_co_u32_e32 v9, vcc, v7, v9
	v_subb_co_u32_e64 v11, s[0:1], v11, v12, vcc
	v_subrev_co_u32_e64 v12, s[0:1], s24, v9
	v_subbrev_co_u32_e64 v11, s[0:1], 0, v11, s[0:1]
	v_cmp_le_u32_e64 s[0:1], s25, v11
	v_cndmask_b32_e64 v13, 0, -1, s[0:1]
	v_cmp_le_u32_e64 s[0:1], s24, v12
	v_cndmask_b32_e64 v12, 0, -1, s[0:1]
	v_cmp_eq_u32_e64 s[0:1], s25, v11
	v_cndmask_b32_e64 v11, v13, v12, s[0:1]
	v_add_co_u32_e64 v12, s[0:1], 2, v4
	v_addc_co_u32_e64 v13, s[0:1], 0, v6, s[0:1]
	v_add_co_u32_e64 v14, s[0:1], 1, v4
	v_addc_co_u32_e64 v15, s[0:1], 0, v6, s[0:1]
	v_subb_co_u32_e32 v10, vcc, v8, v10, vcc
	v_cmp_ne_u32_e64 s[0:1], 0, v11
	v_cmp_le_u32_e32 vcc, s25, v10
	v_cndmask_b32_e64 v11, v15, v13, s[0:1]
	v_cndmask_b32_e64 v13, 0, -1, vcc
	v_cmp_le_u32_e32 vcc, s24, v9
	v_cndmask_b32_e64 v9, 0, -1, vcc
	v_cmp_eq_u32_e32 vcc, s25, v10
	v_cndmask_b32_e32 v9, v13, v9, vcc
	v_cmp_ne_u32_e32 vcc, 0, v9
	v_cndmask_b32_e32 v55, v6, v11, vcc
	v_cndmask_b32_e64 v6, v14, v12, s[0:1]
	v_cndmask_b32_e32 v54, v4, v6, vcc
.LBB0_4:                                ;   in Loop: Header=BB0_2 Depth=1
	s_andn2_saveexec_b64 s[0:1], s[26:27]
	s_cbranch_execz .LBB0_6
; %bb.5:                                ;   in Loop: Header=BB0_2 Depth=1
	v_cvt_f32_u32_e32 v4, s24
	s_sub_i32 s26, 0, s24
	v_mov_b32_e32 v55, v5
	v_rcp_iflag_f32_e32 v4, v4
	v_mul_f32_e32 v4, 0x4f7ffffe, v4
	v_cvt_u32_f32_e32 v4, v4
	v_mul_lo_u32 v6, s26, v4
	v_mul_hi_u32 v6, v4, v6
	v_add_u32_e32 v4, v4, v6
	v_mul_hi_u32 v4, v7, v4
	v_mul_lo_u32 v6, v4, s24
	v_add_u32_e32 v9, 1, v4
	v_sub_u32_e32 v6, v7, v6
	v_subrev_u32_e32 v10, s24, v6
	v_cmp_le_u32_e32 vcc, s24, v6
	v_cndmask_b32_e32 v6, v6, v10, vcc
	v_cndmask_b32_e32 v4, v4, v9, vcc
	v_add_u32_e32 v9, 1, v4
	v_cmp_le_u32_e32 vcc, s24, v6
	v_cndmask_b32_e32 v54, v4, v9, vcc
.LBB0_6:                                ;   in Loop: Header=BB0_2 Depth=1
	s_or_b64 exec, exec, s[0:1]
	v_mul_lo_u32 v4, v55, s24
	v_mul_lo_u32 v6, v54, s25
	v_mad_u64_u32 v[9:10], s[0:1], v54, s24, 0
	s_load_dwordx2 s[0:1], s[6:7], 0x0
	s_load_dwordx2 s[24:25], s[2:3], 0x0
	v_add3_u32 v4, v10, v6, v4
	v_sub_co_u32_e32 v6, vcc, v7, v9
	v_subb_co_u32_e32 v4, vcc, v8, v4, vcc
	s_waitcnt lgkmcnt(0)
	v_mul_lo_u32 v7, s0, v4
	v_mul_lo_u32 v8, s1, v6
	v_mad_u64_u32 v[1:2], s[0:1], s0, v6, v[1:2]
	s_add_u32 s22, s22, 1
	s_addc_u32 s23, s23, 0
	s_add_u32 s2, s2, 8
	v_mul_lo_u32 v4, s24, v4
	v_mul_lo_u32 v9, s25, v6
	v_mad_u64_u32 v[52:53], s[0:1], s24, v6, v[52:53]
	v_add3_u32 v2, v8, v2, v7
	s_addc_u32 s3, s3, 0
	v_mov_b32_e32 v6, s14
	s_add_u32 s6, s6, 8
	v_mov_b32_e32 v7, s15
	s_addc_u32 s7, s7, 0
	v_cmp_ge_u64_e32 vcc, s[22:23], v[6:7]
	s_add_u32 s20, s20, 8
	v_add3_u32 v53, v9, v53, v4
	s_addc_u32 s21, s21, 0
	s_cbranch_vccnz .LBB0_8
; %bb.7:                                ;   in Loop: Header=BB0_2 Depth=1
	v_mov_b32_e32 v7, v54
	v_mov_b32_e32 v8, v55
	s_branch .LBB0_2
.LBB0_8:
	s_mov_b32 s0, 0xaaaaaaab
	s_load_dwordx2 s[4:5], s[4:5], 0x28
	v_mul_hi_u32 v4, v3, s0
	s_lshl_b64 s[6:7], s[14:15], 3
	s_add_u32 s2, s18, s6
	s_addc_u32 s3, s19, s7
	v_lshrrev_b32_e32 v4, 1, v4
	v_lshl_add_u32 v4, v4, 1, v4
	s_waitcnt lgkmcnt(0)
	v_cmp_gt_u64_e64 s[0:1], s[4:5], v[54:55]
	v_cmp_le_u64_e32 vcc, s[4:5], v[54:55]
	v_sub_u32_e32 v3, v3, v4
                                        ; implicit-def: $vgpr56
                                        ; implicit-def: $vgpr4_vgpr5
	s_and_saveexec_b64 s[4:5], vcc
	s_xor_b64 s[4:5], exec, s[4:5]
; %bb.9:
	s_mov_b32 s14, 0x3483484
	v_mul_hi_u32 v1, v0, s14
	v_mov_b32_e32 v57, 0
	v_mul_u32_u24_e32 v1, 0x4e, v1
	v_sub_u32_e32 v56, v0, v1
	v_mov_b32_e32 v4, v56
	v_mov_b32_e32 v5, v57
                                        ; implicit-def: $vgpr0
                                        ; implicit-def: $vgpr1_vgpr2
; %bb.10:
	s_or_saveexec_b64 s[4:5], s[4:5]
	s_load_dwordx2 s[2:3], s[2:3], 0x0
	v_mul_u32_u24_e32 v131, 0x30d, v3
	v_lshlrev_b32_e32 v134, 4, v131
	s_xor_b64 exec, exec, s[4:5]
	s_cbranch_execz .LBB0_14
; %bb.11:
	s_add_u32 s6, s16, s6
	s_addc_u32 s7, s17, s7
	s_load_dwordx2 s[6:7], s[6:7], 0x0
	s_mov_b32 s14, 0x3483484
	v_mul_hi_u32 v5, v0, s14
	v_lshlrev_b64 v[1:2], 4, v[1:2]
	v_mov_b32_e32 v57, 0
	s_waitcnt lgkmcnt(0)
	v_mul_lo_u32 v6, s7, v54
	v_mul_lo_u32 v7, s6, v55
	v_mad_u64_u32 v[3:4], s[6:7], s6, v54, 0
	v_mul_u32_u24_e32 v5, 0x4e, v5
	v_sub_u32_e32 v56, v0, v5
	v_add3_u32 v4, v4, v7, v6
	v_lshlrev_b64 v[3:4], 4, v[3:4]
	v_mov_b32_e32 v0, s9
	v_add_co_u32_e32 v3, vcc, s8, v3
	v_addc_co_u32_e32 v0, vcc, v0, v4, vcc
	v_add_co_u32_e32 v1, vcc, v3, v1
	v_addc_co_u32_e32 v0, vcc, v0, v2, vcc
	v_lshlrev_b32_e32 v2, 4, v56
	v_add_co_u32_e32 v27, vcc, v1, v2
	v_addc_co_u32_e32 v28, vcc, 0, v0, vcc
	s_movk_i32 s6, 0x1000
	v_add_co_u32_e32 v43, vcc, s6, v27
	v_addc_co_u32_e32 v44, vcc, 0, v28, vcc
	v_add_co_u32_e32 v45, vcc, 0x2000, v27
	global_load_dwordx4 v[3:6], v[27:28], off
	global_load_dwordx4 v[7:10], v[27:28], off offset:1248
	global_load_dwordx4 v[11:14], v[27:28], off offset:2496
	;; [unrolled: 1-line block ×5, first 2 shown]
	v_addc_co_u32_e32 v46, vcc, 0, v28, vcc
	global_load_dwordx4 v[27:30], v[43:44], off offset:3392
	global_load_dwordx4 v[31:34], v[45:46], off offset:544
	;; [unrolled: 1-line block ×4, first 2 shown]
	v_add3_u32 v2, 0, v134, v2
	s_movk_i32 s6, 0x4d
	v_cmp_eq_u32_e32 vcc, s6, v56
	s_waitcnt vmcnt(9)
	ds_write_b128 v2, v[3:6]
	s_waitcnt vmcnt(8)
	ds_write_b128 v2, v[7:10] offset:1248
	s_waitcnt vmcnt(7)
	ds_write_b128 v2, v[11:14] offset:2496
	;; [unrolled: 2-line block ×9, first 2 shown]
	v_mov_b32_e32 v4, v56
	v_mov_b32_e32 v5, v57
	s_and_saveexec_b64 s[6:7], vcc
	s_cbranch_execz .LBB0_13
; %bb.12:
	v_add_co_u32_e32 v3, vcc, 0x3000, v1
	v_addc_co_u32_e32 v4, vcc, 0, v0, vcc
	global_load_dwordx4 v[6:9], v[3:4], off offset:192
	v_mov_b32_e32 v4, 0x4d
	v_mov_b32_e32 v5, 0
	;; [unrolled: 1-line block ×3, first 2 shown]
	s_waitcnt vmcnt(0)
	ds_write_b128 v2, v[6:9] offset:11248
.LBB0_13:
	s_or_b64 exec, exec, s[6:7]
.LBB0_14:
	s_or_b64 exec, exec, s[4:5]
	v_lshl_add_u32 v130, v131, 4, 0
	v_lshlrev_b32_e32 v11, 4, v56
	v_add_u32_e32 v132, v130, v11
	s_waitcnt lgkmcnt(0)
	s_barrier
	v_sub_u32_e32 v10, v130, v11
	ds_read_b64 v[6:7], v132
	ds_read_b64 v[8:9], v10 offset:12480
	s_add_u32 s6, s12, 0x30a0
	v_lshlrev_b64 v[58:59], 4, v[4:5]
	s_addc_u32 s7, s13, 0
	v_cmp_ne_u32_e32 vcc, 0, v56
	s_waitcnt lgkmcnt(0)
	v_add_f64 v[0:1], v[6:7], v[8:9]
	v_add_f64 v[2:3], v[6:7], -v[8:9]
	s_and_saveexec_b64 s[4:5], vcc
	s_xor_b64 s[4:5], exec, s[4:5]
	s_cbranch_execz .LBB0_16
; %bb.15:
	v_mov_b32_e32 v1, s7
	v_add_co_u32_e32 v0, vcc, s6, v58
	v_addc_co_u32_e32 v1, vcc, v1, v59, vcc
	global_load_dwordx4 v[2:5], v[0:1], off
	ds_read_b64 v[0:1], v10 offset:12488
	ds_read_b64 v[12:13], v132 offset:8
	v_add_f64 v[14:15], v[6:7], v[8:9]
	v_add_f64 v[8:9], v[6:7], -v[8:9]
	s_waitcnt lgkmcnt(0)
	v_add_f64 v[16:17], v[0:1], v[12:13]
	v_add_f64 v[0:1], v[12:13], -v[0:1]
	s_waitcnt vmcnt(0)
	v_fma_f64 v[6:7], -v[8:9], v[4:5], v[14:15]
	v_fma_f64 v[12:13], v[16:17], v[4:5], -v[0:1]
	v_fma_f64 v[14:15], v[8:9], v[4:5], v[14:15]
	v_fma_f64 v[18:19], v[16:17], v[4:5], v[0:1]
	;; [unrolled: 1-line block ×4, first 2 shown]
	v_fma_f64 v[0:1], -v[16:17], v[2:3], v[14:15]
	v_fma_f64 v[2:3], v[8:9], v[2:3], v[18:19]
	ds_write_b128 v10, v[4:7] offset:12480
.LBB0_16:
	s_andn2_saveexec_b64 s[4:5], s[4:5]
	s_cbranch_execz .LBB0_18
; %bb.17:
	ds_read_b128 v[4:7], v130 offset:6240
	s_waitcnt lgkmcnt(0)
	v_add_f64 v[4:5], v[4:5], v[4:5]
	v_mul_f64 v[6:7], v[6:7], -2.0
	ds_write_b128 v130, v[4:7] offset:6240
.LBB0_18:
	s_or_b64 exec, exec, s[4:5]
	v_mov_b32_e32 v57, 0
	v_lshlrev_b64 v[60:61], 4, v[56:57]
	v_mov_b32_e32 v4, s7
	v_add_co_u32_e32 v24, vcc, s6, v60
	v_addc_co_u32_e32 v25, vcc, v4, v61, vcc
	global_load_dwordx4 v[4:7], v[24:25], off offset:1248
	global_load_dwordx4 v[12:15], v[24:25], off offset:2496
	ds_write_b128 v132, v[0:3]
	ds_read_b128 v[0:3], v132 offset:1248
	ds_read_b128 v[16:19], v10 offset:11232
	global_load_dwordx4 v[20:23], v[24:25], off offset:3744
	s_movk_i32 s4, 0x1000
	v_add_u32_e32 v57, 0, v11
	v_add_u32_e32 v50, 0xea, v56
	s_waitcnt lgkmcnt(0)
	v_add_f64 v[8:9], v[0:1], v[16:17]
	v_add_f64 v[26:27], v[18:19], v[2:3]
	v_add_f64 v[16:17], v[0:1], -v[16:17]
	v_add_f64 v[0:1], v[2:3], -v[18:19]
	v_add_u32_e32 v133, v57, v134
	v_add_u32_e32 v47, v133, v11
	s_waitcnt vmcnt(2)
	v_fma_f64 v[2:3], v[16:17], v[6:7], v[8:9]
	v_fma_f64 v[18:19], v[26:27], v[6:7], v[0:1]
	v_fma_f64 v[8:9], -v[16:17], v[6:7], v[8:9]
	v_fma_f64 v[28:29], v[26:27], v[6:7], -v[0:1]
	v_fma_f64 v[0:1], -v[26:27], v[4:5], v[2:3]
	v_fma_f64 v[2:3], v[16:17], v[4:5], v[18:19]
	v_fma_f64 v[6:7], v[26:27], v[4:5], v[8:9]
	;; [unrolled: 1-line block ×3, first 2 shown]
	ds_write_b128 v132, v[0:3] offset:1248
	ds_write_b128 v10, v[6:9] offset:11232
	v_add_co_u32_e32 v8, vcc, s4, v24
	v_addc_co_u32_e32 v9, vcc, 0, v25, vcc
	ds_read_b128 v[0:3], v132 offset:2496
	ds_read_b128 v[4:7], v10 offset:9984
	global_load_dwordx4 v[16:19], v[8:9], off offset:896
	v_cmp_gt_u32_e32 vcc, 26, v56
	s_waitcnt lgkmcnt(0)
	v_add_f64 v[8:9], v[0:1], v[4:5]
	v_add_f64 v[24:25], v[6:7], v[2:3]
	v_add_f64 v[26:27], v[0:1], -v[4:5]
	v_add_f64 v[0:1], v[2:3], -v[6:7]
	s_waitcnt vmcnt(2)
	v_fma_f64 v[2:3], v[26:27], v[14:15], v[8:9]
	v_fma_f64 v[4:5], v[24:25], v[14:15], v[0:1]
	v_fma_f64 v[6:7], -v[26:27], v[14:15], v[8:9]
	v_fma_f64 v[8:9], v[24:25], v[14:15], -v[0:1]
	v_fma_f64 v[0:1], -v[24:25], v[12:13], v[2:3]
	v_fma_f64 v[2:3], v[26:27], v[12:13], v[4:5]
	v_fma_f64 v[4:5], v[24:25], v[12:13], v[6:7]
	;; [unrolled: 1-line block ×3, first 2 shown]
	ds_write_b128 v132, v[0:3] offset:2496
	ds_write_b128 v10, v[4:7] offset:9984
	ds_read_b128 v[0:3], v132 offset:3744
	ds_read_b128 v[4:7], v10 offset:8736
	s_waitcnt lgkmcnt(0)
	v_add_f64 v[8:9], v[0:1], v[4:5]
	v_add_f64 v[12:13], v[6:7], v[2:3]
	v_add_f64 v[14:15], v[0:1], -v[4:5]
	v_add_f64 v[0:1], v[2:3], -v[6:7]
	s_waitcnt vmcnt(1)
	v_fma_f64 v[2:3], v[14:15], v[22:23], v[8:9]
	v_fma_f64 v[4:5], v[12:13], v[22:23], v[0:1]
	v_fma_f64 v[6:7], -v[14:15], v[22:23], v[8:9]
	v_fma_f64 v[8:9], v[12:13], v[22:23], -v[0:1]
	v_fma_f64 v[0:1], -v[12:13], v[20:21], v[2:3]
	v_fma_f64 v[2:3], v[14:15], v[20:21], v[4:5]
	v_fma_f64 v[4:5], v[12:13], v[20:21], v[6:7]
	;; [unrolled: 1-line block ×3, first 2 shown]
	ds_write_b128 v132, v[0:3] offset:3744
	ds_write_b128 v10, v[4:7] offset:8736
	ds_read_b128 v[0:3], v132 offset:4992
	ds_read_b128 v[4:7], v10 offset:7488
	v_add_u32_e32 v9, 0x4e, v56
	v_add_u32_e32 v8, 0x9c, v56
	v_lshlrev_b32_e32 v22, 5, v8
	v_add3_u32 v49, 0, v22, v134
	s_waitcnt lgkmcnt(0)
	v_add_f64 v[12:13], v[0:1], v[4:5]
	v_add_f64 v[14:15], v[6:7], v[2:3]
	v_add_f64 v[20:21], v[0:1], -v[4:5]
	v_add_f64 v[0:1], v[2:3], -v[6:7]
	s_waitcnt vmcnt(0)
	v_fma_f64 v[2:3], v[20:21], v[18:19], v[12:13]
	v_fma_f64 v[4:5], v[14:15], v[18:19], v[0:1]
	v_fma_f64 v[6:7], -v[20:21], v[18:19], v[12:13]
	v_fma_f64 v[12:13], v[14:15], v[18:19], -v[0:1]
	v_lshlrev_b32_e32 v18, 5, v56
	v_lshlrev_b32_e32 v19, 5, v9
	v_add3_u32 v46, v18, 0, v134
	v_add3_u32 v48, 0, v19, v134
	v_fma_f64 v[0:1], -v[14:15], v[16:17], v[2:3]
	v_fma_f64 v[2:3], v[20:21], v[16:17], v[4:5]
	v_fma_f64 v[4:5], v[14:15], v[16:17], v[6:7]
	;; [unrolled: 1-line block ×3, first 2 shown]
	v_lshlrev_b32_e32 v12, 5, v50
	v_add3_u32 v51, 0, v12, v134
	ds_write_b128 v132, v[0:3] offset:4992
	ds_write_b128 v10, v[4:7] offset:7488
	s_waitcnt lgkmcnt(0)
	s_barrier
	s_barrier
	ds_read_b128 v[0:3], v132
	ds_read_b128 v[10:13], v133 offset:1248
	ds_read_b128 v[4:7], v133 offset:6240
	ds_read_b128 v[14:17], v133 offset:4992
	ds_read_b128 v[18:21], v133 offset:7488
	ds_read_b128 v[22:25], v133 offset:8736
	ds_read_b128 v[26:29], v133 offset:2496
	ds_read_b128 v[30:33], v133 offset:3744
	ds_read_b128 v[34:37], v133 offset:9984
	ds_read_b128 v[38:41], v133 offset:11232
	s_waitcnt lgkmcnt(7)
	v_add_f64 v[42:43], v[0:1], -v[4:5]
	v_add_f64 v[44:45], v[2:3], -v[6:7]
	s_waitcnt lgkmcnt(5)
	v_add_f64 v[18:19], v[10:11], -v[18:19]
	v_add_f64 v[20:21], v[12:13], -v[20:21]
	;; [unrolled: 3-line block ×5, first 2 shown]
	v_fma_f64 v[0:1], v[0:1], 2.0, -v[42:43]
	v_fma_f64 v[2:3], v[2:3], 2.0, -v[44:45]
	;; [unrolled: 1-line block ×4, first 2 shown]
	s_barrier
	ds_write_b128 v48, v[18:21] offset:16
	v_fma_f64 v[18:19], v[26:27], 2.0, -v[22:23]
	v_fma_f64 v[20:21], v[28:29], 2.0, -v[24:25]
	v_fma_f64 v[26:27], v[30:31], 2.0, -v[34:35]
	v_fma_f64 v[28:29], v[32:33], 2.0, -v[36:37]
	v_fma_f64 v[14:15], v[14:15], 2.0, -v[4:5]
	v_fma_f64 v[16:17], v[16:17], 2.0, -v[6:7]
	ds_write_b128 v47, v[42:45] offset:16
	ds_write_b128 v49, v[22:25] offset:16
	;; [unrolled: 1-line block ×4, first 2 shown]
	ds_write_b128 v47, v[0:3]
	ds_write_b128 v48, v[10:13]
	;; [unrolled: 1-line block ×4, first 2 shown]
	ds_write_b128 v46, v[14:17] offset:9984
	s_waitcnt lgkmcnt(0)
	s_barrier
	ds_read_b128 v[18:21], v132
	ds_read_b128 v[10:13], v133 offset:1248
	ds_read_b128 v[30:33], v133 offset:8320
	;; [unrolled: 1-line block ×8, first 2 shown]
                                        ; implicit-def: $vgpr48_vgpr49
                                        ; implicit-def: $vgpr44_vgpr45
	s_and_saveexec_b64 s[4:5], vcc
	s_cbranch_execz .LBB0_20
; %bb.19:
	ds_read_b128 v[4:7], v133 offset:3744
	ds_read_b128 v[42:45], v133 offset:7904
	;; [unrolled: 1-line block ×3, first 2 shown]
.LBB0_20:
	s_or_b64 exec, exec, s[4:5]
	v_and_b32_e32 v51, 1, v56
	v_lshlrev_b32_e32 v70, 5, v51
	global_load_dwordx4 v[62:65], v70, s[12:13]
	global_load_dwordx4 v[66:69], v70, s[12:13] offset:16
	v_lshrrev_b32_e32 v70, 1, v56
	v_lshrrev_b32_e32 v9, 1, v9
	v_lshrrev_b32_e32 v8, 1, v8
	v_mul_u32_u24_e32 v70, 6, v70
	v_mul_u32_u24_e32 v9, 6, v9
	;; [unrolled: 1-line block ×3, first 2 shown]
	v_or_b32_e32 v70, v70, v51
	v_or_b32_e32 v9, v9, v51
	;; [unrolled: 1-line block ×3, first 2 shown]
	v_lshlrev_b32_e32 v70, 4, v70
	v_lshlrev_b32_e32 v9, 4, v9
	;; [unrolled: 1-line block ×3, first 2 shown]
	v_add3_u32 v98, 0, v70, v134
	v_add3_u32 v99, 0, v9, v134
	;; [unrolled: 1-line block ×3, first 2 shown]
	s_mov_b32 s4, 0xe8584caa
	s_mov_b32 s5, 0xbfebb67a
	;; [unrolled: 1-line block ×4, first 2 shown]
	s_waitcnt vmcnt(0) lgkmcnt(0)
	s_barrier
	v_mul_f64 v[8:9], v[40:41], v[64:65]
	v_mul_f64 v[70:71], v[38:39], v[64:65]
	;; [unrolled: 1-line block ×16, first 2 shown]
	v_fma_f64 v[8:9], v[38:39], v[62:63], v[8:9]
	v_fma_f64 v[38:39], v[40:41], v[62:63], -v[70:71]
	v_fma_f64 v[30:31], v[30:31], v[66:67], v[72:73]
	v_fma_f64 v[32:33], v[32:33], v[66:67], -v[74:75]
	;; [unrolled: 2-line block ×8, first 2 shown]
	v_add_f64 v[46:47], v[18:19], v[8:9]
	v_add_f64 v[48:49], v[8:9], v[30:31]
	v_add_f64 v[62:63], v[38:39], -v[32:33]
	v_add_f64 v[64:65], v[20:21], v[38:39]
	v_add_f64 v[38:39], v[38:39], v[32:33]
	v_add_f64 v[66:67], v[8:9], -v[30:31]
	;; [unrolled: 3-line block ×3, first 2 shown]
	v_add_f64 v[74:75], v[12:13], v[36:37]
	v_add_f64 v[36:37], v[36:37], v[70:71]
	;; [unrolled: 1-line block ×6, first 2 shown]
	v_add_f64 v[92:93], v[28:29], -v[44:45]
	v_add_f64 v[94:95], v[6:7], v[28:29]
	v_add_f64 v[28:29], v[28:29], v[44:45]
	v_add_f64 v[34:35], v[34:35], -v[40:41]
	v_add_f64 v[76:77], v[14:15], v[0:1]
	v_add_f64 v[80:81], v[2:3], -v[26:27]
	;; [unrolled: 2-line block ×3, first 2 shown]
	v_add_f64 v[96:97], v[24:25], -v[42:43]
	v_add_f64 v[0:1], v[46:47], v[30:31]
	v_fma_f64 v[18:19], v[48:49], -0.5, v[18:19]
	v_add_f64 v[2:3], v[64:65], v[32:33]
	v_fma_f64 v[20:21], v[38:39], -0.5, v[20:21]
	;; [unrolled: 2-line block ×3, first 2 shown]
	v_fma_f64 v[32:33], v[36:37], -0.5, v[12:13]
	v_fma_f64 v[40:41], v[78:79], -0.5, v[14:15]
	;; [unrolled: 1-line block ×3, first 2 shown]
	v_add_f64 v[36:37], v[88:89], v[42:43]
	v_fma_f64 v[42:43], v[90:91], -0.5, v[4:5]
	v_fma_f64 v[48:49], v[28:29], -0.5, v[6:7]
	v_add_f64 v[10:11], v[74:75], v[70:71]
	v_add_f64 v[24:25], v[76:77], v[22:23]
	;; [unrolled: 1-line block ×4, first 2 shown]
	v_fma_f64 v[4:5], v[62:63], s[4:5], v[18:19]
	v_fma_f64 v[12:13], v[62:63], s[6:7], v[18:19]
	;; [unrolled: 1-line block ×16, first 2 shown]
	ds_write_b128 v98, v[0:3]
	ds_write_b128 v98, v[4:7] offset:32
	ds_write_b128 v98, v[12:15] offset:64
	ds_write_b128 v99, v[8:11]
	ds_write_b128 v99, v[16:19] offset:32
	ds_write_b128 v99, v[20:23] offset:64
	;; [unrolled: 3-line block ×3, first 2 shown]
	s_and_saveexec_b64 s[4:5], vcc
	s_cbranch_execz .LBB0_22
; %bb.21:
	v_lshrrev_b32_e32 v48, 1, v50
	v_mul_u32_u24_e32 v48, 6, v48
	v_or_b32_e32 v48, v48, v51
	v_lshlrev_b32_e32 v48, 4, v48
	v_add3_u32 v48, 0, v48, v134
	ds_write_b128 v48, v[36:39]
	ds_write_b128 v48, v[40:43] offset:32
	ds_write_b128 v48, v[44:47] offset:64
.LBB0_22:
	s_or_b64 exec, exec, s[4:5]
	v_cmp_gt_u32_e32 vcc, 60, v56
	s_waitcnt lgkmcnt(0)
	s_barrier
	s_waitcnt lgkmcnt(0)
                                        ; implicit-def: $vgpr50_vgpr51
	s_and_saveexec_b64 s[4:5], vcc
	s_cbranch_execz .LBB0_24
; %bb.23:
	ds_read_b128 v[0:3], v132
	ds_read_b128 v[4:7], v133 offset:960
	ds_read_b128 v[12:15], v133 offset:1920
	;; [unrolled: 1-line block ×12, first 2 shown]
.LBB0_24:
	s_or_b64 exec, exec, s[4:5]
	s_waitcnt lgkmcnt(0)
	s_barrier
	s_and_saveexec_b64 s[4:5], vcc
	s_cbranch_execz .LBB0_26
; %bb.25:
	s_movk_i32 s6, 0xab
	v_mul_lo_u16_sdwa v62, v56, s6 dst_sel:DWORD dst_unused:UNUSED_PAD src0_sel:BYTE_0 src1_sel:DWORD
	v_lshrrev_b16_e32 v135, 10, v62
	v_mul_lo_u16_e32 v62, 6, v135
	v_sub_u16_e32 v136, v56, v62
	v_mov_b32_e32 v62, 12
	v_mul_u32_u24_sdwa v62, v136, v62 dst_sel:DWORD dst_unused:UNUSED_PAD src0_sel:BYTE_0 src1_sel:DWORD
	v_lshlrev_b32_e32 v66, 4, v62
	global_load_dwordx4 v[62:65], v66, s[12:13] offset:144
	global_load_dwordx4 v[68:71], v66, s[12:13] offset:160
	;; [unrolled: 1-line block ×12, first 2 shown]
	s_mov_b32 s6, 0x4bc48dbf
	s_mov_b32 s7, 0xbfcea1e5
	;; [unrolled: 1-line block ×32, first 2 shown]
	s_waitcnt vmcnt(11)
	v_mul_f64 v[66:67], v[26:27], v[64:65]
	v_mul_f64 v[64:65], v[24:25], v[64:65]
	s_waitcnt vmcnt(10)
	v_mul_f64 v[78:79], v[34:35], v[70:71]
	v_mul_f64 v[84:85], v[32:33], v[70:71]
	s_waitcnt vmcnt(8)
	v_mul_f64 v[126:127], v[30:31], v[82:83]
	s_waitcnt vmcnt(6)
	;; [unrolled: 2-line block ×4, first 2 shown]
	v_mul_f64 v[128:129], v[6:7], v[104:105]
	v_mul_f64 v[137:138], v[4:5], v[104:105]
	s_waitcnt vmcnt(3)
	v_mul_f64 v[104:105], v[50:51], v[108:109]
	v_mul_f64 v[108:109], v[48:49], v[108:109]
	s_waitcnt vmcnt(2)
	v_mul_f64 v[139:140], v[14:15], v[114:115]
	s_waitcnt vmcnt(1)
	v_mul_f64 v[141:142], v[46:47], v[118:119]
	v_mul_f64 v[143:144], v[44:45], v[118:119]
	v_fma_f64 v[70:71], v[24:25], v[62:63], v[66:67]
	v_fma_f64 v[118:119], v[4:5], v[102:103], v[128:129]
	v_mul_f64 v[96:97], v[36:37], v[96:97]
	v_fma_f64 v[24:25], v[48:49], v[106:107], v[104:105]
	v_mul_f64 v[114:115], v[12:13], v[114:115]
	s_waitcnt vmcnt(0)
	v_mul_f64 v[145:146], v[42:43], v[124:125]
	v_mul_f64 v[124:125], v[40:41], v[124:125]
	v_fma_f64 v[72:73], v[26:27], v[62:63], -v[64:65]
	v_fma_f64 v[66:67], v[32:33], v[68:69], v[78:79]
	v_fma_f64 v[62:63], v[36:37], v[94:95], v[110:111]
	;; [unrolled: 1-line block ×3, first 2 shown]
	v_fma_f64 v[120:121], v[6:7], v[102:103], -v[137:138]
	v_fma_f64 v[110:111], v[12:13], v[112:113], v[139:140]
	v_fma_f64 v[32:33], v[44:45], v[116:117], v[141:142]
	v_fma_f64 v[26:27], v[50:51], v[106:107], -v[108:109]
	v_add_f64 v[128:129], v[118:119], -v[24:25]
	v_mul_f64 v[90:91], v[22:23], v[76:77]
	v_mul_f64 v[92:93], v[18:19], v[88:89]
	;; [unrolled: 1-line block ×3, first 2 shown]
	v_fma_f64 v[68:69], v[34:35], v[68:69], -v[84:85]
	v_fma_f64 v[64:65], v[38:39], v[94:95], -v[96:97]
	;; [unrolled: 1-line block ×4, first 2 shown]
	v_fma_f64 v[36:37], v[40:41], v[122:123], v[145:146]
	v_fma_f64 v[38:39], v[42:43], v[122:123], -v[124:125]
	v_fma_f64 v[40:41], v[28:29], v[80:81], v[126:127]
	v_add_f64 v[116:117], v[110:111], -v[32:33]
	v_add_f64 v[124:125], v[120:121], v[26:27]
	v_add_f64 v[126:127], v[120:121], -v[26:27]
	v_mul_f64 v[4:5], v[128:129], s[6:7]
	v_mul_f64 v[82:83], v[28:29], v[82:83]
	;; [unrolled: 1-line block ×3, first 2 shown]
	v_fma_f64 v[78:79], v[20:21], v[74:75], v[90:91]
	v_fma_f64 v[90:91], v[16:17], v[86:87], v[92:93]
	v_fma_f64 v[108:109], v[10:11], v[98:99], -v[100:101]
	v_add_f64 v[96:97], v[112:113], v[34:35]
	v_add_f64 v[122:123], v[118:119], v[24:25]
	v_add_f64 v[102:103], v[112:113], -v[34:35]
	v_add_f64 v[114:115], v[104:105], -v[36:37]
	v_mul_f64 v[6:7], v[126:127], s[6:7]
	v_mul_f64 v[8:9], v[116:117], s[22:23]
	v_fma_f64 v[10:11], v[124:125], s[8:9], v[4:5]
	v_mul_f64 v[76:77], v[20:21], v[76:77]
	v_fma_f64 v[92:93], v[18:19], v[86:87], -v[88:89]
	v_fma_f64 v[42:43], v[30:31], v[80:81], -v[82:83]
	v_add_f64 v[80:81], v[110:111], v[32:33]
	v_add_f64 v[88:89], v[108:109], v[38:39]
	v_add_f64 v[100:101], v[108:109], -v[38:39]
	v_add_f64 v[106:107], v[90:91], -v[62:63]
	v_mul_f64 v[12:13], v[102:103], s[22:23]
	v_mul_f64 v[14:15], v[114:115], s[18:19]
	v_fma_f64 v[20:21], v[122:123], s[8:9], -v[6:7]
	v_fma_f64 v[137:138], v[96:97], s[14:15], v[8:9]
	v_add_f64 v[10:11], v[2:3], v[10:11]
	v_fma_f64 v[84:85], v[22:23], v[74:75], -v[76:77]
	v_add_f64 v[74:75], v[104:105], v[36:37]
	v_add_f64 v[86:87], v[92:93], v[64:65]
	v_add_f64 v[94:95], v[92:93], -v[64:65]
	v_add_f64 v[98:99], v[78:79], -v[40:41]
	v_mul_f64 v[16:17], v[100:101], s[18:19]
	v_mul_f64 v[18:19], v[106:107], s[38:39]
	v_fma_f64 v[145:146], v[80:81], s[14:15], -v[12:13]
	v_add_f64 v[20:21], v[0:1], v[20:21]
	v_fma_f64 v[149:150], v[88:89], s[16:17], v[14:15]
	v_add_f64 v[10:11], v[137:138], v[10:11]
	v_add_f64 v[50:51], v[90:91], v[62:63]
	v_add_f64 v[76:77], v[84:85], v[42:43]
	v_add_f64 v[48:49], v[84:85], -v[42:43]
	v_add_f64 v[82:83], v[70:71], -v[66:67]
	v_mul_f64 v[22:23], v[94:95], s[38:39]
	v_mul_f64 v[139:140], v[98:99], s[28:29]
	v_fma_f64 v[153:154], v[74:75], s[16:17], -v[16:17]
	v_fma_f64 v[155:156], v[86:87], s[20:21], v[18:19]
	v_add_f64 v[20:21], v[145:146], v[20:21]
	v_fma_f64 v[4:5], v[124:125], s[8:9], -v[4:5]
	v_add_f64 v[10:11], v[149:150], v[10:11]
	v_add_f64 v[28:29], v[78:79], v[40:41]
	;; [unrolled: 1-line block ×3, first 2 shown]
	v_add_f64 v[44:45], v[72:73], -v[68:69]
	v_mul_f64 v[141:142], v[48:49], s[28:29]
	v_mul_f64 v[143:144], v[82:83], s[34:35]
	v_fma_f64 v[145:146], v[50:51], s[20:21], -v[22:23]
	v_fma_f64 v[149:150], v[76:77], s[24:25], v[139:140]
	v_fma_f64 v[8:9], v[96:97], s[14:15], -v[8:9]
	v_add_f64 v[20:21], v[153:154], v[20:21]
	v_fma_f64 v[6:7], v[122:123], s[8:9], v[6:7]
	v_add_f64 v[4:5], v[2:3], v[4:5]
	v_add_f64 v[10:11], v[155:156], v[10:11]
	;; [unrolled: 1-line block ×3, first 2 shown]
	v_mul_f64 v[147:148], v[44:45], s[34:35]
	v_mul_f64 v[137:138], v[128:129], s[18:19]
	v_fma_f64 v[157:158], v[28:29], s[24:25], -v[141:142]
	v_fma_f64 v[159:160], v[46:47], s[26:27], v[143:144]
	v_fma_f64 v[12:13], v[80:81], s[14:15], v[12:13]
	v_fma_f64 v[14:15], v[88:89], s[16:17], -v[14:15]
	v_add_f64 v[20:21], v[145:146], v[20:21]
	v_add_f64 v[6:7], v[0:1], v[6:7]
	;; [unrolled: 1-line block ×4, first 2 shown]
	v_mul_f64 v[151:152], v[116:117], s[34:35]
	v_fma_f64 v[153:154], v[30:31], s[26:27], -v[147:148]
	v_fma_f64 v[155:156], v[124:125], s[16:17], v[137:138]
	v_fma_f64 v[10:11], v[74:75], s[16:17], v[16:17]
	v_fma_f64 v[16:17], v[86:87], s[20:21], -v[18:19]
	v_add_f64 v[20:21], v[157:158], v[20:21]
	v_add_f64 v[12:13], v[12:13], v[6:7]
	;; [unrolled: 1-line block ×4, first 2 shown]
	v_mul_f64 v[8:9], v[126:127], s[18:19]
	v_fma_f64 v[18:19], v[96:97], s[26:27], v[151:152]
	v_add_f64 v[145:146], v[2:3], v[155:156]
	v_mul_f64 v[149:150], v[114:115], s[30:31]
	v_add_f64 v[4:5], v[153:154], v[20:21]
	v_add_f64 v[10:11], v[10:11], v[12:13]
	;; [unrolled: 1-line block ×3, first 2 shown]
	v_mul_f64 v[20:21], v[102:103], s[34:35]
	v_fma_f64 v[16:17], v[122:123], s[16:17], -v[8:9]
	v_fma_f64 v[14:15], v[50:51], s[20:21], v[22:23]
	v_add_f64 v[18:19], v[18:19], v[145:146]
	v_fma_f64 v[22:23], v[88:89], s[20:21], v[149:150]
	v_mul_f64 v[145:146], v[106:107], s[42:43]
	v_mul_f64 v[155:156], v[100:101], s[30:31]
	v_fma_f64 v[139:140], v[76:77], s[24:25], -v[139:140]
	v_fma_f64 v[153:154], v[80:81], s[26:27], -v[20:21]
	v_add_f64 v[16:17], v[0:1], v[16:17]
	v_add_f64 v[10:11], v[14:15], v[10:11]
	v_fma_f64 v[14:15], v[28:29], s[24:25], v[141:142]
	v_add_f64 v[18:19], v[22:23], v[18:19]
	v_fma_f64 v[22:23], v[86:87], s[8:9], v[145:146]
	v_fma_f64 v[137:138], v[124:125], s[16:17], -v[137:138]
	v_mul_f64 v[141:142], v[98:99], s[22:23]
	v_mul_f64 v[157:158], v[94:95], s[42:43]
	v_add_f64 v[16:17], v[153:154], v[16:17]
	v_fma_f64 v[153:154], v[74:75], s[20:21], -v[155:156]
	v_add_f64 v[12:13], v[139:140], v[12:13]
	v_add_f64 v[14:15], v[14:15], v[10:11]
	v_fma_f64 v[10:11], v[96:97], s[26:27], -v[151:152]
	v_add_f64 v[137:138], v[2:3], v[137:138]
	v_add_f64 v[18:19], v[22:23], v[18:19]
	v_fma_f64 v[22:23], v[76:77], s[14:15], v[141:142]
	v_fma_f64 v[139:140], v[50:51], s[8:9], -v[157:158]
	v_add_f64 v[16:17], v[153:154], v[16:17]
	v_mul_f64 v[151:152], v[48:49], s[22:23]
	v_mul_f64 v[153:154], v[82:83], s[28:29]
	v_fma_f64 v[143:144], v[46:47], s[26:27], -v[143:144]
	v_add_f64 v[137:138], v[10:11], v[137:138]
	v_fma_f64 v[149:150], v[88:89], s[20:21], -v[149:150]
	v_add_f64 v[18:19], v[22:23], v[18:19]
	v_fma_f64 v[147:148], v[30:31], s[26:27], v[147:148]
	v_add_f64 v[16:17], v[139:140], v[16:17]
	v_fma_f64 v[22:23], v[28:29], s[14:15], -v[151:152]
	v_fma_f64 v[139:140], v[46:47], s[24:25], v[153:154]
	v_add_f64 v[10:11], v[143:144], v[12:13]
	v_mul_f64 v[143:144], v[44:45], s[28:29]
	v_add_f64 v[12:13], v[149:150], v[137:138]
	v_fma_f64 v[137:138], v[122:123], s[16:17], v[8:9]
	v_fma_f64 v[145:146], v[86:87], s[8:9], -v[145:146]
	v_add_f64 v[8:9], v[147:148], v[14:15]
	v_add_f64 v[16:17], v[22:23], v[16:17]
	v_mul_f64 v[22:23], v[128:129], s[28:29]
	v_add_f64 v[14:15], v[139:140], v[18:19]
	v_fma_f64 v[18:19], v[30:31], s[24:25], -v[143:144]
	v_fma_f64 v[20:21], v[80:81], s[26:27], v[20:21]
	v_add_f64 v[137:138], v[0:1], v[137:138]
	v_add_f64 v[139:140], v[145:146], v[12:13]
	v_mul_f64 v[145:146], v[126:127], s[28:29]
	v_mul_f64 v[149:150], v[116:117], s[40:41]
	v_fma_f64 v[147:148], v[124:125], s[24:25], v[22:23]
	v_fma_f64 v[141:142], v[76:77], s[14:15], -v[141:142]
	v_mul_f64 v[159:160], v[102:103], s[40:41]
	v_add_f64 v[12:13], v[18:19], v[16:17]
	v_add_f64 v[20:21], v[20:21], v[137:138]
	v_fma_f64 v[137:138], v[74:75], s[20:21], v[155:156]
	v_fma_f64 v[155:156], v[122:123], s[24:25], -v[145:146]
	v_fma_f64 v[18:19], v[96:97], s[16:17], v[149:150]
	v_add_f64 v[16:17], v[2:3], v[147:148]
	v_mul_f64 v[147:148], v[114:115], s[22:23]
	v_add_f64 v[139:140], v[141:142], v[139:140]
	v_fma_f64 v[141:142], v[80:81], s[16:17], -v[159:160]
	v_fma_f64 v[157:158], v[50:51], s[8:9], v[157:158]
	v_add_f64 v[20:21], v[137:138], v[20:21]
	v_add_f64 v[137:138], v[0:1], v[155:156]
	v_mul_f64 v[155:156], v[100:101], s[22:23]
	v_add_f64 v[16:17], v[18:19], v[16:17]
	v_fma_f64 v[18:19], v[88:89], s[14:15], v[147:148]
	v_mul_f64 v[161:162], v[106:107], s[36:37]
	v_mul_f64 v[163:164], v[94:95], s[36:37]
	v_fma_f64 v[151:152], v[28:29], s[14:15], v[151:152]
	v_add_f64 v[20:21], v[157:158], v[20:21]
	v_add_f64 v[137:138], v[141:142], v[137:138]
	v_fma_f64 v[141:142], v[74:75], s[14:15], -v[155:156]
	v_fma_f64 v[153:154], v[46:47], s[24:25], -v[153:154]
	v_add_f64 v[16:17], v[18:19], v[16:17]
	v_fma_f64 v[157:158], v[86:87], s[26:27], v[161:162]
	v_mul_f64 v[165:166], v[98:99], s[42:43]
	v_mul_f64 v[167:168], v[48:49], s[42:43]
	v_add_f64 v[20:21], v[151:152], v[20:21]
	v_fma_f64 v[143:144], v[30:31], s[24:25], v[143:144]
	v_add_f64 v[137:138], v[141:142], v[137:138]
	v_fma_f64 v[141:142], v[50:51], s[26:27], -v[163:164]
	v_add_f64 v[18:19], v[153:154], v[139:140]
	v_fma_f64 v[22:23], v[124:125], s[24:25], -v[22:23]
	v_add_f64 v[139:140], v[157:158], v[16:17]
	v_fma_f64 v[151:152], v[76:77], s[8:9], v[165:166]
	v_mul_f64 v[153:154], v[82:83], s[38:39]
	v_mul_f64 v[157:158], v[44:45], s[38:39]
	v_fma_f64 v[149:150], v[96:97], s[16:17], -v[149:150]
	v_add_f64 v[137:138], v[141:142], v[137:138]
	v_fma_f64 v[141:142], v[28:29], s[8:9], -v[167:168]
	v_add_f64 v[22:23], v[2:3], v[22:23]
	v_add_f64 v[16:17], v[143:144], v[20:21]
	;; [unrolled: 1-line block ×3, first 2 shown]
	v_fma_f64 v[139:140], v[122:123], s[24:25], v[145:146]
	v_fma_f64 v[143:144], v[30:31], s[20:21], -v[157:158]
	v_mul_f64 v[145:146], v[128:129], s[36:37]
	v_fma_f64 v[147:148], v[88:89], s[14:15], -v[147:148]
	v_add_f64 v[137:138], v[141:142], v[137:138]
	v_fma_f64 v[141:142], v[46:47], s[20:21], v[153:154]
	v_add_f64 v[149:150], v[149:150], v[22:23]
	v_fma_f64 v[151:152], v[80:81], s[16:17], v[159:160]
	v_add_f64 v[139:140], v[0:1], v[139:140]
	v_mul_f64 v[159:160], v[126:127], s[36:37]
	s_mov_b32 s39, 0x3fedeba7
	s_mov_b32 s38, s28
	v_fma_f64 v[155:156], v[74:75], s[14:15], v[155:156]
	v_add_f64 v[22:23], v[141:142], v[20:21]
	v_add_f64 v[20:21], v[143:144], v[137:138]
	v_fma_f64 v[137:138], v[124:125], s[26:27], v[145:146]
	v_mul_f64 v[141:142], v[116:117], s[6:7]
	v_add_f64 v[143:144], v[147:148], v[149:150]
	v_add_f64 v[139:140], v[151:152], v[139:140]
	v_fma_f64 v[149:150], v[122:123], s[26:27], -v[159:160]
	v_mul_f64 v[151:152], v[102:103], s[6:7]
	v_fma_f64 v[147:148], v[86:87], s[26:27], -v[161:162]
	v_mul_f64 v[169:170], v[114:115], s[38:39]
	v_add_f64 v[137:138], v[2:3], v[137:138]
	v_fma_f64 v[161:162], v[96:97], s[8:9], v[141:142]
	v_mul_f64 v[173:174], v[100:101], s[38:39]
	v_add_f64 v[139:140], v[155:156], v[139:140]
	v_add_f64 v[149:150], v[0:1], v[149:150]
	v_fma_f64 v[171:172], v[80:81], s[8:9], -v[151:152]
	v_add_f64 v[143:144], v[147:148], v[143:144]
	v_fma_f64 v[147:148], v[50:51], s[26:27], v[163:164]
	v_fma_f64 v[155:156], v[88:89], s[24:25], v[169:170]
	v_add_f64 v[137:138], v[161:162], v[137:138]
	v_mul_f64 v[161:162], v[106:107], s[22:23]
	v_fma_f64 v[163:164], v[74:75], s[24:25], -v[173:174]
	v_fma_f64 v[165:166], v[76:77], s[8:9], -v[165:166]
	v_add_f64 v[149:150], v[171:172], v[149:150]
	v_mul_f64 v[171:172], v[94:95], s[22:23]
	v_add_f64 v[139:140], v[147:148], v[139:140]
	v_fma_f64 v[147:148], v[28:29], s[8:9], v[167:168]
	v_add_f64 v[137:138], v[155:156], v[137:138]
	v_fma_f64 v[155:156], v[86:87], s[14:15], v[161:162]
	v_mul_f64 v[167:168], v[98:99], s[30:31]
	v_add_f64 v[143:144], v[165:166], v[143:144]
	v_add_f64 v[149:150], v[163:164], v[149:150]
	v_fma_f64 v[163:164], v[50:51], s[14:15], -v[171:172]
	v_mul_f64 v[165:166], v[48:49], s[30:31]
	v_add_f64 v[147:148], v[147:148], v[139:140]
	v_fma_f64 v[139:140], v[46:47], s[20:21], -v[153:154]
	v_fma_f64 v[145:146], v[124:125], s[26:27], -v[145:146]
	v_add_f64 v[137:138], v[155:156], v[137:138]
	v_fma_f64 v[153:154], v[76:77], s[20:21], v[167:168]
	v_mul_f64 v[155:156], v[82:83], s[18:19]
	v_add_f64 v[149:150], v[163:164], v[149:150]
	v_fma_f64 v[163:164], v[28:29], s[20:21], -v[165:166]
	v_mul_f64 v[175:176], v[44:45], s[18:19]
	v_fma_f64 v[141:142], v[96:97], s[8:9], -v[141:142]
	v_add_f64 v[145:146], v[2:3], v[145:146]
	v_fma_f64 v[157:158], v[30:31], s[20:21], v[157:158]
	v_add_f64 v[139:140], v[139:140], v[143:144]
	v_add_f64 v[143:144], v[153:154], v[137:138]
	v_fma_f64 v[153:154], v[46:47], s[16:17], v[155:156]
	v_add_f64 v[149:150], v[163:164], v[149:150]
	v_fma_f64 v[163:164], v[30:31], s[16:17], -v[175:176]
	v_mul_f64 v[177:178], v[128:129], s[30:31]
	v_mul_f64 v[179:180], v[126:127], s[30:31]
	v_add_f64 v[145:146], v[141:142], v[145:146]
	v_fma_f64 v[169:170], v[88:89], s[24:25], -v[169:170]
	v_add_f64 v[137:138], v[157:158], v[147:148]
	v_add_f64 v[143:144], v[153:154], v[143:144]
	v_fma_f64 v[147:148], v[122:123], s[26:27], v[159:160]
	v_add_f64 v[141:142], v[163:164], v[149:150]
	v_fma_f64 v[149:150], v[124:125], s[20:21], v[177:178]
	v_mul_f64 v[153:154], v[116:117], s[28:29]
	v_fma_f64 v[157:158], v[122:123], s[20:21], -v[179:180]
	v_mul_f64 v[159:160], v[102:103], s[28:29]
	v_add_f64 v[145:146], v[169:170], v[145:146]
	v_fma_f64 v[151:152], v[80:81], s[8:9], v[151:152]
	v_add_f64 v[147:148], v[0:1], v[147:148]
	v_fma_f64 v[161:162], v[86:87], s[14:15], -v[161:162]
	v_add_f64 v[149:150], v[2:3], v[149:150]
	v_fma_f64 v[163:164], v[96:97], s[24:25], v[153:154]
	v_mul_f64 v[169:170], v[114:115], s[6:7]
	v_add_f64 v[157:158], v[0:1], v[157:158]
	v_fma_f64 v[181:182], v[80:81], s[24:25], -v[159:160]
	v_mul_f64 v[183:184], v[100:101], s[6:7]
	v_add_f64 v[147:148], v[151:152], v[147:148]
	v_fma_f64 v[151:152], v[74:75], s[24:25], v[173:174]
	v_add_f64 v[145:146], v[161:162], v[145:146]
	v_add_f64 v[149:150], v[163:164], v[149:150]
	v_fma_f64 v[161:162], v[88:89], s[8:9], v[169:170]
	v_mul_f64 v[163:164], v[106:107], s[40:41]
	v_add_f64 v[157:158], v[181:182], v[157:158]
	v_fma_f64 v[173:174], v[74:75], s[8:9], -v[183:184]
	v_mul_f64 v[181:182], v[94:95], s[40:41]
	v_add_f64 v[147:148], v[151:152], v[147:148]
	v_fma_f64 v[151:152], v[50:51], s[14:15], v[171:172]
	v_fma_f64 v[167:168], v[76:77], s[20:21], -v[167:168]
	v_add_f64 v[149:150], v[161:162], v[149:150]
	v_fma_f64 v[161:162], v[86:87], s[16:17], v[163:164]
	v_mul_f64 v[171:172], v[98:99], s[34:35]
	v_add_f64 v[157:158], v[173:174], v[157:158]
	v_fma_f64 v[173:174], v[50:51], s[16:17], -v[181:182]
	v_mul_f64 v[185:186], v[48:49], s[34:35]
	v_add_f64 v[120:121], v[2:3], v[120:121]
	v_add_f64 v[118:119], v[0:1], v[118:119]
	;; [unrolled: 1-line block ×3, first 2 shown]
	v_fma_f64 v[151:152], v[28:29], s[20:21], v[165:166]
	v_add_f64 v[145:146], v[167:168], v[145:146]
	v_fma_f64 v[155:156], v[46:47], s[16:17], -v[155:156]
	v_add_f64 v[149:150], v[161:162], v[149:150]
	v_fma_f64 v[161:162], v[76:77], s[26:27], v[171:172]
	v_add_f64 v[157:158], v[173:174], v[157:158]
	v_fma_f64 v[165:166], v[28:29], s[26:27], -v[185:186]
	v_mul_f64 v[167:168], v[82:83], s[22:23]
	v_add_f64 v[112:113], v[120:121], v[112:113]
	v_add_f64 v[110:111], v[118:119], v[110:111]
	v_fma_f64 v[173:174], v[30:31], s[16:17], v[175:176]
	v_mul_f64 v[175:176], v[44:45], s[22:23]
	s_mov_b32 s23, 0xbfddbe06
	v_add_f64 v[151:152], v[151:152], v[147:148]
	v_add_f64 v[147:148], v[155:156], v[145:146]
	;; [unrolled: 1-line block ×4, first 2 shown]
	v_fma_f64 v[157:158], v[46:47], s[14:15], v[167:168]
	v_mul_f64 v[161:162], v[128:129], s[22:23]
	v_add_f64 v[108:109], v[112:113], v[108:109]
	v_add_f64 v[104:105], v[110:111], v[104:105]
	v_fma_f64 v[177:178], v[124:125], s[20:21], -v[177:178]
	v_add_f64 v[145:146], v[173:174], v[151:152]
	v_mul_f64 v[151:152], v[126:127], s[22:23]
	v_fma_f64 v[165:166], v[30:31], s[14:15], -v[175:176]
	v_add_f64 v[128:129], v[157:158], v[149:150]
	v_fma_f64 v[149:150], v[122:123], s[20:21], v[179:180]
	v_fma_f64 v[157:158], v[124:125], s[14:15], v[161:162]
	v_add_f64 v[92:93], v[108:109], v[92:93]
	v_add_f64 v[90:91], v[104:105], v[90:91]
	;; [unrolled: 1-line block ×3, first 2 shown]
	v_fma_f64 v[153:154], v[96:97], s[24:25], -v[153:154]
	v_fma_f64 v[124:125], v[124:125], s[14:15], -v[161:162]
	;; [unrolled: 1-line block ×3, first 2 shown]
	v_fma_f64 v[122:123], v[122:123], s[14:15], v[151:152]
	v_add_f64 v[149:150], v[0:1], v[149:150]
	v_add_f64 v[151:152], v[2:3], v[157:158]
	v_fma_f64 v[157:158], v[80:81], s[24:25], v[159:160]
	v_add_f64 v[84:85], v[92:93], v[84:85]
	v_add_f64 v[78:79], v[90:91], v[78:79]
	;; [unrolled: 1-line block ×4, first 2 shown]
	v_fma_f64 v[155:156], v[88:89], s[8:9], -v[169:170]
	v_add_f64 v[2:3], v[2:3], v[124:125]
	v_mul_f64 v[116:117], v[116:117], s[30:31]
	v_add_f64 v[124:125], v[157:158], v[149:150]
	v_fma_f64 v[149:150], v[74:75], s[8:9], v[183:184]
	v_add_f64 v[72:73], v[84:85], v[72:73]
	v_add_f64 v[70:71], v[78:79], v[70:71]
	v_mul_f64 v[102:103], v[102:103], s[30:31]
	v_add_f64 v[153:154], v[155:156], v[153:154]
	v_fma_f64 v[155:156], v[86:87], s[16:17], -v[163:164]
	v_fma_f64 v[110:111], v[50:51], s[16:17], v[181:182]
	v_add_f64 v[159:160], v[0:1], v[161:162]
	v_add_f64 v[124:125], v[149:150], v[124:125]
	;; [unrolled: 1-line block ×5, first 2 shown]
	v_mul_f64 v[114:115], v[114:115], s[36:37]
	v_mul_f64 v[100:101], v[100:101], s[36:37]
	v_fma_f64 v[90:91], v[96:97], s[20:21], -v[116:117]
	v_fma_f64 v[70:71], v[80:81], s[20:21], v[102:103]
	v_add_f64 v[118:119], v[155:156], v[153:154]
	v_fma_f64 v[120:121], v[76:77], s[26:27], -v[171:172]
	v_fma_f64 v[122:123], v[96:97], s[20:21], v[116:117]
	v_add_f64 v[104:105], v[110:111], v[124:125]
	v_fma_f64 v[110:111], v[80:81], s[20:21], -v[102:103]
	v_add_f64 v[42:43], v[68:69], v[42:43]
	v_add_f64 v[40:41], v[66:67], v[40:41]
	v_mul_f64 v[106:107], v[106:107], s[28:29]
	v_mul_f64 v[92:93], v[98:99], s[18:19]
	v_fma_f64 v[98:99], v[74:75], s[26:27], -v[100:101]
	v_mul_f64 v[94:95], v[94:95], s[28:29]
	v_fma_f64 v[78:79], v[88:89], s[26:27], -v[114:115]
	v_add_f64 v[2:3], v[90:91], v[2:3]
	v_fma_f64 v[74:75], v[74:75], s[26:27], v[100:101]
	v_add_f64 v[0:1], v[70:71], v[0:1]
	v_add_f64 v[112:113], v[120:121], v[118:119]
	;; [unrolled: 1-line block ×3, first 2 shown]
	v_fma_f64 v[120:121], v[88:89], s[26:27], v[114:115]
	v_add_f64 v[96:97], v[110:111], v[159:160]
	v_add_f64 v[42:43], v[42:43], v[64:65]
	;; [unrolled: 1-line block ×3, first 2 shown]
	v_fma_f64 v[90:91], v[50:51], s[24:25], -v[94:95]
	v_fma_f64 v[80:81], v[86:87], s[24:25], -v[106:107]
	v_add_f64 v[2:3], v[78:79], v[2:3]
	v_mul_f64 v[68:69], v[82:83], s[6:7]
	v_fma_f64 v[50:51], v[50:51], s[24:25], v[94:95]
	v_mul_f64 v[48:49], v[48:49], s[18:19]
	v_add_f64 v[0:1], v[74:75], v[0:1]
	v_add_f64 v[118:119], v[120:121], v[118:119]
	v_fma_f64 v[120:121], v[86:87], s[24:25], v[106:107]
	v_add_f64 v[88:89], v[98:99], v[96:97]
	v_add_f64 v[38:39], v[42:43], v[38:39]
	;; [unrolled: 1-line block ×3, first 2 shown]
	v_fma_f64 v[66:67], v[76:77], s[16:17], -v[92:93]
	v_add_f64 v[2:3], v[80:81], v[2:3]
	v_fma_f64 v[62:63], v[46:47], s[14:15], -v[167:168]
	v_fma_f64 v[64:65], v[46:47], s[8:9], v[68:69]
	v_fma_f64 v[46:47], v[46:47], s[8:9], -v[68:69]
	v_mul_f64 v[44:45], v[44:45], s[6:7]
	v_fma_f64 v[68:69], v[28:29], s[16:17], v[48:49]
	v_add_f64 v[0:1], v[50:51], v[0:1]
	v_fma_f64 v[108:109], v[28:29], s[26:27], v[185:186]
	v_add_f64 v[110:111], v[120:121], v[118:119]
	;; [unrolled: 2-line block ×3, first 2 shown]
	v_fma_f64 v[28:29], v[28:29], s[16:17], -v[48:49]
	v_add_f64 v[34:35], v[38:39], v[34:35]
	v_add_f64 v[38:39], v[36:37], v[32:33]
	;; [unrolled: 1-line block ×3, first 2 shown]
	v_fma_f64 v[42:43], v[30:31], s[14:15], v[175:176]
	v_fma_f64 v[48:49], v[30:31], s[8:9], -v[44:45]
	v_fma_f64 v[30:31], v[30:31], s[8:9], v[44:45]
	v_add_f64 v[44:45], v[68:69], v[0:1]
	v_add_f64 v[96:97], v[108:109], v[104:105]
	;; [unrolled: 1-line block ×10, first 2 shown]
	s_movk_i32 s6, 0x4e0
	v_mov_b32_e32 v25, 4
	v_mad_u32_u24 v24, v135, s6, 0
	v_lshlrev_b32_sdwa v25, v25, v136 dst_sel:DWORD dst_unused:UNUSED_PAD src0_sel:DWORD src1_sel:BYTE_0
	v_add3_u32 v24, v24, v25, v134
	v_add_f64 v[28:29], v[64:65], v[72:73]
	v_add_f64 v[26:27], v[48:49], v[50:51]
	ds_write_b128 v24, v[34:37]
	ds_write_b128 v24, v[30:33] offset:96
	ds_write_b128 v24, v[0:3] offset:192
	;; [unrolled: 1-line block ×12, first 2 shown]
.LBB0_26:
	s_or_b64 exec, exec, s[4:5]
	v_lshlrev_b32_e32 v0, 2, v56
	v_mov_b32_e32 v1, 0
	v_lshlrev_b64 v[2:3], 4, v[0:1]
	v_mov_b32_e32 v0, s13
	v_add_co_u32_e32 v18, vcc, s12, v2
	v_addc_co_u32_e32 v19, vcc, v0, v3, vcc
	s_waitcnt lgkmcnt(0)
	s_barrier
	global_load_dwordx4 v[2:5], v[18:19], off offset:1216
	global_load_dwordx4 v[6:9], v[18:19], off offset:1232
	global_load_dwordx4 v[10:13], v[18:19], off offset:1248
	global_load_dwordx4 v[14:17], v[18:19], off offset:1264
	ds_read_b128 v[18:21], v132
	ds_read_b128 v[22:25], v133 offset:1248
	ds_read_b128 v[26:29], v133 offset:2496
	;; [unrolled: 1-line block ×9, first 2 shown]
	s_mov_b32 s8, 0x134454ff
	s_mov_b32 s9, 0xbfee6f0e
	s_mov_b32 s17, 0x3fee6f0e
	s_mov_b32 s16, s8
	s_mov_b32 s4, 0x4755a5e
	s_mov_b32 s5, 0xbfe2cf23
	s_mov_b32 s15, 0x3fe2cf23
	s_mov_b32 s14, s4
	s_mov_b32 s6, 0x372fe950
	s_mov_b32 s7, 0x3fd3c6ef
	s_waitcnt vmcnt(0) lgkmcnt(0)
	s_barrier
	v_mul_f64 v[50:51], v[28:29], v[4:5]
	v_mul_f64 v[70:71], v[26:27], v[4:5]
	;; [unrolled: 1-line block ×14, first 2 shown]
	v_fma_f64 v[26:27], v[26:27], v[2:3], v[50:51]
	v_fma_f64 v[28:29], v[28:29], v[2:3], -v[70:71]
	v_fma_f64 v[34:35], v[34:35], v[6:7], v[72:73]
	v_fma_f64 v[36:37], v[36:37], v[6:7], -v[74:75]
	;; [unrolled: 2-line block ×4, first 2 shown]
	v_mul_f64 v[86:87], v[40:41], v[8:9]
	v_mul_f64 v[8:9], v[38:39], v[8:9]
	v_fma_f64 v[30:31], v[30:31], v[2:3], v[84:85]
	v_fma_f64 v[32:33], v[32:33], v[2:3], -v[4:5]
	v_fma_f64 v[46:47], v[46:47], v[10:11], v[88:89]
	v_fma_f64 v[48:49], v[48:49], v[10:11], -v[12:13]
	;; [unrolled: 2-line block ×3, first 2 shown]
	v_add_f64 v[2:3], v[18:19], v[26:27]
	v_add_f64 v[4:5], v[34:35], v[42:43]
	v_add_f64 v[10:11], v[26:27], -v[34:35]
	v_add_f64 v[12:13], v[50:51], -v[42:43]
	v_add_f64 v[14:15], v[26:27], v[50:51]
	v_add_f64 v[72:73], v[36:37], v[44:45]
	;; [unrolled: 1-line block ×4, first 2 shown]
	v_fma_f64 v[40:41], v[40:41], v[6:7], -v[8:9]
	v_add_f64 v[8:9], v[36:37], -v[44:45]
	v_add_f64 v[74:75], v[34:35], -v[42:43]
	;; [unrolled: 1-line block ×4, first 2 shown]
	v_add_f64 v[2:3], v[2:3], v[34:35]
	v_fma_f64 v[4:5], v[4:5], -0.5, v[18:19]
	v_add_f64 v[10:11], v[10:11], v[12:13]
	v_fma_f64 v[12:13], v[14:15], -0.5, v[18:19]
	v_fma_f64 v[18:19], v[72:73], -0.5, v[20:21]
	;; [unrolled: 1-line block ×3, first 2 shown]
	v_fma_f64 v[38:39], v[38:39], v[6:7], v[86:87]
	v_add_f64 v[6:7], v[28:29], -v[62:63]
	v_add_f64 v[16:17], v[34:35], -v[26:27]
	;; [unrolled: 1-line block ×3, first 2 shown]
	v_add_f64 v[14:15], v[70:71], v[36:37]
	v_add_f64 v[68:69], v[42:43], -v[50:51]
	v_add_f64 v[28:29], v[36:37], -v[28:29]
	;; [unrolled: 1-line block ×3, first 2 shown]
	v_add_f64 v[34:35], v[76:77], v[78:79]
	v_add_f64 v[2:3], v[2:3], v[42:43]
	v_fma_f64 v[72:73], v[8:9], s[16:17], v[12:13]
	v_fma_f64 v[12:13], v[8:9], s[8:9], v[12:13]
	;; [unrolled: 1-line block ×4, first 2 shown]
	v_add_f64 v[86:87], v[38:39], v[46:47]
	v_fma_f64 v[42:43], v[6:7], s[8:9], v[4:5]
	v_fma_f64 v[4:5], v[6:7], s[16:17], v[4:5]
	v_add_f64 v[14:15], v[14:15], v[44:45]
	v_fma_f64 v[44:45], v[26:27], s[16:17], v[18:19]
	v_fma_f64 v[18:19], v[26:27], s[8:9], v[18:19]
	v_add_f64 v[84:85], v[22:23], v[30:31]
	v_add_f64 v[16:17], v[16:17], v[68:69]
	;; [unrolled: 1-line block ×4, first 2 shown]
	v_fma_f64 v[50:51], v[6:7], s[4:5], v[72:73]
	v_fma_f64 v[12:13], v[6:7], s[14:15], v[12:13]
	;; [unrolled: 1-line block ×4, first 2 shown]
	v_add_f64 v[88:89], v[32:33], -v[66:67]
	v_fma_f64 v[68:69], v[86:87], -0.5, v[22:23]
	v_fma_f64 v[42:43], v[8:9], s[4:5], v[42:43]
	v_fma_f64 v[8:9], v[8:9], s[14:15], v[4:5]
	v_add_f64 v[4:5], v[14:15], v[62:63]
	v_fma_f64 v[44:45], v[74:75], s[14:15], v[44:45]
	v_fma_f64 v[62:63], v[74:75], s[4:5], v[18:19]
	v_add_f64 v[36:37], v[84:85], v[38:39]
	v_fma_f64 v[14:15], v[16:17], s[6:7], v[50:51]
	v_fma_f64 v[18:19], v[16:17], s[6:7], v[12:13]
	;; [unrolled: 1-line block ×4, first 2 shown]
	v_add_f64 v[28:29], v[40:41], v[48:49]
	v_add_f64 v[96:97], v[30:31], v[64:65]
	;; [unrolled: 1-line block ×3, first 2 shown]
	v_fma_f64 v[78:79], v[88:89], s[8:9], v[68:69]
	v_fma_f64 v[6:7], v[10:11], s[6:7], v[42:43]
	;; [unrolled: 1-line block ×6, first 2 shown]
	v_add_f64 v[68:69], v[24:25], v[32:33]
	v_add_f64 v[92:93], v[30:31], -v[38:39]
	v_add_f64 v[36:37], v[36:37], v[46:47]
	v_add_f64 v[44:45], v[38:39], -v[30:31]
	v_add_f64 v[62:63], v[46:47], -v[64:65]
	v_fma_f64 v[28:29], v[28:29], -0.5, v[24:25]
	v_add_f64 v[30:31], v[30:31], -v[64:65]
	v_add_f64 v[90:91], v[40:41], -v[48:49]
	v_fma_f64 v[42:43], v[96:97], -0.5, v[22:23]
	v_add_f64 v[38:39], v[38:39], -v[46:47]
	v_fma_f64 v[24:25], v[50:51], -0.5, v[24:25]
	v_add_f64 v[94:95], v[64:65], -v[46:47]
	v_add_f64 v[46:47], v[68:69], v[40:41]
	v_add_f64 v[22:23], v[36:37], v[64:65]
	;; [unrolled: 1-line block ×3, first 2 shown]
	v_fma_f64 v[50:51], v[30:31], s[16:17], v[28:29]
	v_add_f64 v[62:63], v[32:33], -v[40:41]
	v_add_f64 v[64:65], v[66:67], -v[48:49]
	v_fma_f64 v[36:37], v[90:91], s[16:17], v[42:43]
	v_fma_f64 v[68:69], v[38:39], s[8:9], v[24:25]
	v_add_f64 v[32:33], v[40:41], -v[32:33]
	v_add_f64 v[40:41], v[48:49], -v[66:67]
	v_fma_f64 v[42:43], v[90:91], s[8:9], v[42:43]
	v_fma_f64 v[28:29], v[30:31], s[8:9], v[28:29]
	;; [unrolled: 1-line block ×3, first 2 shown]
	v_add_f64 v[46:47], v[46:47], v[48:49]
	v_add_f64 v[70:71], v[92:93], v[94:95]
	v_fma_f64 v[26:27], v[90:91], s[4:5], v[78:79]
	v_fma_f64 v[48:49], v[38:39], s[14:15], v[50:51]
	v_add_f64 v[50:51], v[62:63], v[64:65]
	v_fma_f64 v[34:35], v[90:91], s[14:15], v[34:35]
	v_fma_f64 v[36:37], v[88:89], s[4:5], v[36:37]
	v_fma_f64 v[64:65], v[30:31], s[14:15], v[68:69]
	v_add_f64 v[40:41], v[32:33], v[40:41]
	v_fma_f64 v[42:43], v[88:89], s[14:15], v[42:43]
	;; [unrolled: 4-line block ×3, first 2 shown]
	v_fma_f64 v[28:29], v[50:51], s[6:7], v[48:49]
	v_fma_f64 v[30:31], v[70:71], s[6:7], v[34:35]
	;; [unrolled: 1-line block ×7, first 2 shown]
	ds_write_b128 v133, v[2:5]
	ds_write_b128 v133, v[6:9] offset:1248
	ds_write_b128 v133, v[14:17] offset:2496
	;; [unrolled: 1-line block ×9, first 2 shown]
	v_add_co_u32_e32 v2, vcc, s12, v58
	v_addc_co_u32_e32 v3, vcc, v0, v59, vcc
	s_movk_i32 s4, 0x1000
	v_add_co_u32_e32 v2, vcc, s4, v2
	v_addc_co_u32_e32 v3, vcc, 0, v3, vcc
	v_add_co_u32_e32 v10, vcc, s12, v60
	v_addc_co_u32_e32 v0, vcc, v0, v61, vcc
	;; [unrolled: 2-line block ×3, first 2 shown]
	s_waitcnt lgkmcnt(0)
	s_barrier
	global_load_dwordx4 v[2:5], v[2:3], off offset:2112
	s_movk_i32 s4, 0x2000
	global_load_dwordx4 v[6:9], v[6:7], off offset:3360
	v_add_co_u32_e32 v22, vcc, s4, v10
	v_addc_co_u32_e32 v23, vcc, 0, v0, vcc
	global_load_dwordx4 v[10:13], v[22:23], off offset:512
	global_load_dwordx4 v[14:17], v[22:23], off offset:1760
	;; [unrolled: 1-line block ×3, first 2 shown]
	ds_read_b128 v[22:25], v133 offset:6240
	ds_read_b128 v[26:29], v132
	ds_read_b128 v[30:33], v133 offset:1248
	ds_read_b128 v[34:37], v133 offset:7488
	;; [unrolled: 1-line block ×4, first 2 shown]
	v_lshl_add_u32 v0, v131, 4, v57
	ds_read_b128 v[46:49], v133 offset:2496
	ds_read_b128 v[57:60], v133 offset:3744
	;; [unrolled: 1-line block ×4, first 2 shown]
	s_waitcnt vmcnt(0) lgkmcnt(0)
	s_barrier
	v_mul_f64 v[50:51], v[24:25], v[4:5]
	v_mul_f64 v[4:5], v[22:23], v[4:5]
	;; [unrolled: 1-line block ×4, first 2 shown]
	v_fma_f64 v[22:23], v[22:23], v[2:3], v[50:51]
	v_fma_f64 v[4:5], v[24:25], v[2:3], -v[4:5]
	v_fma_f64 v[24:25], v[34:35], v[6:7], v[69:70]
	v_fma_f64 v[34:35], v[36:37], v[6:7], -v[8:9]
	v_mul_f64 v[6:7], v[40:41], v[12:13]
	v_mul_f64 v[8:9], v[38:39], v[12:13]
	;; [unrolled: 1-line block ×6, first 2 shown]
	v_add_f64 v[2:3], v[26:27], -v[22:23]
	v_add_f64 v[4:5], v[28:29], -v[4:5]
	v_fma_f64 v[22:23], v[38:39], v[10:11], v[6:7]
	v_fma_f64 v[38:39], v[40:41], v[10:11], -v[8:9]
	v_fma_f64 v[40:41], v[61:62], v[14:15], v[12:13]
	v_fma_f64 v[50:51], v[63:64], v[14:15], -v[16:17]
	;; [unrolled: 2-line block ×3, first 2 shown]
	v_add_f64 v[10:11], v[30:31], -v[24:25]
	v_add_f64 v[12:13], v[32:33], -v[34:35]
	;; [unrolled: 1-line block ×6, first 2 shown]
	v_fma_f64 v[6:7], v[26:27], 2.0, -v[2:3]
	v_fma_f64 v[8:9], v[28:29], 2.0, -v[4:5]
	v_add_f64 v[22:23], v[42:43], -v[36:37]
	v_add_f64 v[24:25], v[44:45], -v[61:62]
	v_fma_f64 v[26:27], v[30:31], 2.0, -v[10:11]
	v_fma_f64 v[28:29], v[32:33], 2.0, -v[12:13]
	;; [unrolled: 1-line block ×8, first 2 shown]
	ds_write_b128 v133, v[6:9]
	ds_write_b128 v133, v[2:5] offset:6240
	ds_write_b128 v133, v[26:29] offset:1248
	;; [unrolled: 1-line block ×9, first 2 shown]
	s_waitcnt lgkmcnt(0)
	s_barrier
	s_and_saveexec_b64 s[4:5], s[0:1]
	s_cbranch_execz .LBB0_28
; %bb.27:
	v_mul_lo_u32 v0, s3, v54
	v_mul_lo_u32 v2, s2, v55
	v_mad_u64_u32 v[6:7], s[0:1], s2, v54, 0
	v_lshl_add_u32 v12, v56, 4, v130
	v_mov_b32_e32 v57, v1
	v_add3_u32 v7, v7, v2, v0
	v_lshlrev_b64 v[6:7], 4, v[6:7]
	v_mov_b32_e32 v0, s11
	v_add_co_u32_e32 v8, vcc, s10, v6
	v_addc_co_u32_e32 v0, vcc, v0, v7, vcc
	v_lshlrev_b64 v[6:7], 4, v[52:53]
	ds_read_b128 v[2:5], v12
	v_add_co_u32_e32 v13, vcc, v8, v6
	v_addc_co_u32_e32 v14, vcc, v0, v7, vcc
	v_lshlrev_b64 v[6:7], 4, v[56:57]
	v_add_u32_e32 v0, 0x4e, v56
	v_add_co_u32_e32 v10, vcc, v13, v6
	v_addc_co_u32_e32 v11, vcc, v14, v7, vcc
	ds_read_b128 v[6:9], v12 offset:1248
	s_waitcnt lgkmcnt(1)
	global_store_dwordx4 v[10:11], v[2:5], off
	s_nop 0
	v_lshlrev_b64 v[2:3], 4, v[0:1]
	v_add_u32_e32 v0, 0x9c, v56
	v_add_co_u32_e32 v2, vcc, v13, v2
	v_addc_co_u32_e32 v3, vcc, v14, v3, vcc
	s_waitcnt lgkmcnt(0)
	global_store_dwordx4 v[2:3], v[6:9], off
	ds_read_b128 v[2:5], v12 offset:2496
	v_lshlrev_b64 v[6:7], 4, v[0:1]
	v_add_u32_e32 v0, 0xea, v56
	v_add_co_u32_e32 v10, vcc, v13, v6
	v_addc_co_u32_e32 v11, vcc, v14, v7, vcc
	ds_read_b128 v[6:9], v12 offset:3744
	s_waitcnt lgkmcnt(1)
	global_store_dwordx4 v[10:11], v[2:5], off
	s_nop 0
	v_lshlrev_b64 v[2:3], 4, v[0:1]
	v_add_u32_e32 v0, 0x138, v56
	v_add_co_u32_e32 v2, vcc, v13, v2
	v_addc_co_u32_e32 v3, vcc, v14, v3, vcc
	s_waitcnt lgkmcnt(0)
	global_store_dwordx4 v[2:3], v[6:9], off
	ds_read_b128 v[2:5], v12 offset:4992
	v_lshlrev_b64 v[6:7], 4, v[0:1]
	v_add_u32_e32 v0, 0x186, v56
	v_add_co_u32_e32 v10, vcc, v13, v6
	v_addc_co_u32_e32 v11, vcc, v14, v7, vcc
	ds_read_b128 v[6:9], v12 offset:6240
	s_waitcnt lgkmcnt(1)
	global_store_dwordx4 v[10:11], v[2:5], off
	s_nop 0
	v_lshlrev_b64 v[2:3], 4, v[0:1]
	v_add_u32_e32 v0, 0x1d4, v56
	v_add_co_u32_e32 v2, vcc, v13, v2
	v_addc_co_u32_e32 v3, vcc, v14, v3, vcc
	s_waitcnt lgkmcnt(0)
	global_store_dwordx4 v[2:3], v[6:9], off
	ds_read_b128 v[2:5], v12 offset:7488
	v_lshlrev_b64 v[6:7], 4, v[0:1]
	v_add_u32_e32 v0, 0x222, v56
	v_add_co_u32_e32 v10, vcc, v13, v6
	v_addc_co_u32_e32 v11, vcc, v14, v7, vcc
	ds_read_b128 v[6:9], v12 offset:8736
	s_waitcnt lgkmcnt(1)
	global_store_dwordx4 v[10:11], v[2:5], off
	s_nop 0
	v_lshlrev_b64 v[2:3], 4, v[0:1]
	v_add_u32_e32 v0, 0x270, v56
	v_add_co_u32_e32 v2, vcc, v13, v2
	v_addc_co_u32_e32 v3, vcc, v14, v3, vcc
	s_waitcnt lgkmcnt(0)
	global_store_dwordx4 v[2:3], v[6:9], off
	ds_read_b128 v[2:5], v12 offset:9984
	v_lshlrev_b64 v[6:7], 4, v[0:1]
	v_add_u32_e32 v0, 0x2be, v56
	v_add_co_u32_e32 v10, vcc, v13, v6
	v_addc_co_u32_e32 v11, vcc, v14, v7, vcc
	ds_read_b128 v[6:9], v12 offset:11232
	v_lshlrev_b64 v[0:1], 4, v[0:1]
	s_waitcnt lgkmcnt(1)
	global_store_dwordx4 v[10:11], v[2:5], off
	v_add_co_u32_e32 v0, vcc, v13, v0
	v_addc_co_u32_e32 v1, vcc, v14, v1, vcc
	s_waitcnt lgkmcnt(0)
	global_store_dwordx4 v[0:1], v[6:9], off
.LBB0_28:
	s_endpgm
	.section	.rodata,"a",@progbits
	.p2align	6, 0x0
	.amdhsa_kernel fft_rtc_back_len780_factors_2_3_13_5_2_wgs_234_tpt_78_halfLds_dp_op_CI_CI_unitstride_sbrr_C2R_dirReg
		.amdhsa_group_segment_fixed_size 0
		.amdhsa_private_segment_fixed_size 0
		.amdhsa_kernarg_size 104
		.amdhsa_user_sgpr_count 6
		.amdhsa_user_sgpr_private_segment_buffer 1
		.amdhsa_user_sgpr_dispatch_ptr 0
		.amdhsa_user_sgpr_queue_ptr 0
		.amdhsa_user_sgpr_kernarg_segment_ptr 1
		.amdhsa_user_sgpr_dispatch_id 0
		.amdhsa_user_sgpr_flat_scratch_init 0
		.amdhsa_user_sgpr_private_segment_size 0
		.amdhsa_uses_dynamic_stack 0
		.amdhsa_system_sgpr_private_segment_wavefront_offset 0
		.amdhsa_system_sgpr_workgroup_id_x 1
		.amdhsa_system_sgpr_workgroup_id_y 0
		.amdhsa_system_sgpr_workgroup_id_z 0
		.amdhsa_system_sgpr_workgroup_info 0
		.amdhsa_system_vgpr_workitem_id 0
		.amdhsa_next_free_vgpr 187
		.amdhsa_next_free_sgpr 44
		.amdhsa_reserve_vcc 1
		.amdhsa_reserve_flat_scratch 0
		.amdhsa_float_round_mode_32 0
		.amdhsa_float_round_mode_16_64 0
		.amdhsa_float_denorm_mode_32 3
		.amdhsa_float_denorm_mode_16_64 3
		.amdhsa_dx10_clamp 1
		.amdhsa_ieee_mode 1
		.amdhsa_fp16_overflow 0
		.amdhsa_exception_fp_ieee_invalid_op 0
		.amdhsa_exception_fp_denorm_src 0
		.amdhsa_exception_fp_ieee_div_zero 0
		.amdhsa_exception_fp_ieee_overflow 0
		.amdhsa_exception_fp_ieee_underflow 0
		.amdhsa_exception_fp_ieee_inexact 0
		.amdhsa_exception_int_div_zero 0
	.end_amdhsa_kernel
	.text
.Lfunc_end0:
	.size	fft_rtc_back_len780_factors_2_3_13_5_2_wgs_234_tpt_78_halfLds_dp_op_CI_CI_unitstride_sbrr_C2R_dirReg, .Lfunc_end0-fft_rtc_back_len780_factors_2_3_13_5_2_wgs_234_tpt_78_halfLds_dp_op_CI_CI_unitstride_sbrr_C2R_dirReg
                                        ; -- End function
	.section	.AMDGPU.csdata,"",@progbits
; Kernel info:
; codeLenInByte = 11108
; NumSgprs: 48
; NumVgprs: 187
; ScratchSize: 0
; MemoryBound: 0
; FloatMode: 240
; IeeeMode: 1
; LDSByteSize: 0 bytes/workgroup (compile time only)
; SGPRBlocks: 5
; VGPRBlocks: 46
; NumSGPRsForWavesPerEU: 48
; NumVGPRsForWavesPerEU: 187
; Occupancy: 1
; WaveLimiterHint : 1
; COMPUTE_PGM_RSRC2:SCRATCH_EN: 0
; COMPUTE_PGM_RSRC2:USER_SGPR: 6
; COMPUTE_PGM_RSRC2:TRAP_HANDLER: 0
; COMPUTE_PGM_RSRC2:TGID_X_EN: 1
; COMPUTE_PGM_RSRC2:TGID_Y_EN: 0
; COMPUTE_PGM_RSRC2:TGID_Z_EN: 0
; COMPUTE_PGM_RSRC2:TIDIG_COMP_CNT: 0
	.type	__hip_cuid_73bec95a077bbcaf,@object ; @__hip_cuid_73bec95a077bbcaf
	.section	.bss,"aw",@nobits
	.globl	__hip_cuid_73bec95a077bbcaf
__hip_cuid_73bec95a077bbcaf:
	.byte	0                               ; 0x0
	.size	__hip_cuid_73bec95a077bbcaf, 1

	.ident	"AMD clang version 19.0.0git (https://github.com/RadeonOpenCompute/llvm-project roc-6.4.0 25133 c7fe45cf4b819c5991fe208aaa96edf142730f1d)"
	.section	".note.GNU-stack","",@progbits
	.addrsig
	.addrsig_sym __hip_cuid_73bec95a077bbcaf
	.amdgpu_metadata
---
amdhsa.kernels:
  - .args:
      - .actual_access:  read_only
        .address_space:  global
        .offset:         0
        .size:           8
        .value_kind:     global_buffer
      - .offset:         8
        .size:           8
        .value_kind:     by_value
      - .actual_access:  read_only
        .address_space:  global
        .offset:         16
        .size:           8
        .value_kind:     global_buffer
      - .actual_access:  read_only
        .address_space:  global
        .offset:         24
        .size:           8
        .value_kind:     global_buffer
      - .actual_access:  read_only
        .address_space:  global
        .offset:         32
        .size:           8
        .value_kind:     global_buffer
      - .offset:         40
        .size:           8
        .value_kind:     by_value
      - .actual_access:  read_only
        .address_space:  global
        .offset:         48
        .size:           8
        .value_kind:     global_buffer
      - .actual_access:  read_only
        .address_space:  global
        .offset:         56
        .size:           8
        .value_kind:     global_buffer
      - .offset:         64
        .size:           4
        .value_kind:     by_value
      - .actual_access:  read_only
        .address_space:  global
        .offset:         72
        .size:           8
        .value_kind:     global_buffer
      - .actual_access:  read_only
        .address_space:  global
        .offset:         80
        .size:           8
        .value_kind:     global_buffer
      - .actual_access:  read_only
        .address_space:  global
        .offset:         88
        .size:           8
        .value_kind:     global_buffer
      - .actual_access:  write_only
        .address_space:  global
        .offset:         96
        .size:           8
        .value_kind:     global_buffer
    .group_segment_fixed_size: 0
    .kernarg_segment_align: 8
    .kernarg_segment_size: 104
    .language:       OpenCL C
    .language_version:
      - 2
      - 0
    .max_flat_workgroup_size: 234
    .name:           fft_rtc_back_len780_factors_2_3_13_5_2_wgs_234_tpt_78_halfLds_dp_op_CI_CI_unitstride_sbrr_C2R_dirReg
    .private_segment_fixed_size: 0
    .sgpr_count:     48
    .sgpr_spill_count: 0
    .symbol:         fft_rtc_back_len780_factors_2_3_13_5_2_wgs_234_tpt_78_halfLds_dp_op_CI_CI_unitstride_sbrr_C2R_dirReg.kd
    .uniform_work_group_size: 1
    .uses_dynamic_stack: false
    .vgpr_count:     187
    .vgpr_spill_count: 0
    .wavefront_size: 64
amdhsa.target:   amdgcn-amd-amdhsa--gfx906
amdhsa.version:
  - 1
  - 2
...

	.end_amdgpu_metadata
